;; amdgpu-corpus repo=ROCm/rocFFT kind=compiled arch=gfx950 opt=O3
	.text
	.amdgcn_target "amdgcn-amd-amdhsa--gfx950"
	.amdhsa_code_object_version 6
	.protected	fft_rtc_back_len169_factors_13_13_wgs_156_tpt_13_sp_op_CI_CI_sbrc_z_xy_diag_dirReg ; -- Begin function fft_rtc_back_len169_factors_13_13_wgs_156_tpt_13_sp_op_CI_CI_sbrc_z_xy_diag_dirReg
	.globl	fft_rtc_back_len169_factors_13_13_wgs_156_tpt_13_sp_op_CI_CI_sbrc_z_xy_diag_dirReg
	.p2align	8
	.type	fft_rtc_back_len169_factors_13_13_wgs_156_tpt_13_sp_op_CI_CI_sbrc_z_xy_diag_dirReg,@function
fft_rtc_back_len169_factors_13_13_wgs_156_tpt_13_sp_op_CI_CI_sbrc_z_xy_diag_dirReg: ; @fft_rtc_back_len169_factors_13_13_wgs_156_tpt_13_sp_op_CI_CI_sbrc_z_xy_diag_dirReg
; %bb.0:
	s_load_dwordx8 s[4:11], s[0:1], 0x0
	v_mov_b32_e32 v7, 0
	s_movk_i32 s23, 0xa9
	s_mov_b32 s48, 0xbeedf032
	s_mov_b32 s24, 0xbf52af12
	s_waitcnt lgkmcnt(0)
	s_load_dwordx4 s[12:15], s[8:9], 0x8
	s_mov_b32 s9, 0
	s_mov_b32 s26, 0x3f116cb1
	;; [unrolled: 1-line block ×4, first 2 shown]
	s_waitcnt lgkmcnt(0)
	s_add_i32 s3, s12, -1
	s_mul_hi_u32 s3, s3, 0xaaaaaaab
	s_lshr_b32 s3, s3, 3
	s_add_i32 s3, s3, 1
	s_mul_i32 s3, s3, s14
	v_cvt_f32_u32_e32 v1, s3
	s_load_dwordx4 s[12:15], s[0:1], 0x58
	s_load_dwordx2 s[20:21], s[0:1], 0x20
	s_sub_i32 s0, 0, s3
	s_load_dwordx4 s[16:19], s[10:11], 0x0
	s_load_dword s8, s[10:11], 0x10
	v_rcp_iflag_f32_e32 v1, v1
	s_mov_b32 s28, 0xbf788fa5
	s_mov_b32 s42, 0x3f29c268
                                        ; kill: killed $sgpr20 killed $sgpr21
	s_mov_b32 s46, 0x3f6f5d39
	v_mul_f32_e32 v1, 0x4f7ffffe, v1
	v_cvt_u32_f32_e32 v1, v1
	s_mov_b32 s38, 0x3e750f2a
	s_mov_b32 s30, 0x3f52af12
	;; [unrolled: 1-line block ×3, first 2 shown]
	v_readfirstlane_b32 s1, v1
	s_mul_i32 s0, s0, s1
	s_mul_hi_u32 s0, s1, s0
	s_add_i32 s1, s1, s0
	s_mul_hi_u32 s0, s2, s1
	s_mul_i32 s1, s0, s3
	s_sub_i32 s1, s2, s1
	s_waitcnt lgkmcnt(0)
	s_add_i32 s19, s0, 1
	s_sub_i32 s22, s1, s3
	s_cmp_ge_u32 s1, s3
	s_cselect_b32 s0, s19, s0
	s_cselect_b32 s1, s22, s1
	s_add_i32 s19, s0, 1
	s_cmp_ge_u32 s1, s3
	s_cselect_b32 s19, s19, s0
	s_mul_i32 s3, s19, s3
	s_sub_i32 s2, s2, s3
	s_mul_hi_u32 s3, s2, 0x4ec4ec4f
	s_lshr_b32 s3, s3, 2
	s_lshl_b64 s[0:1], s[6:7], 3
	s_mul_i32 s6, s3, 13
	s_sub_i32 s2, s2, s6
	s_add_i32 s3, s3, s2
	s_mul_i32 s40, s2, 12
	s_mul_hi_u32 s2, s3, 0x60f25deb
	s_lshr_b32 s2, s2, 6
	s_mulk_i32 s2, 0xa9
	s_sub_i32 s7, s3, s2
	s_mul_i32 s6, s40, s18
	s_mul_i32 s2, s7, s8
	s_add_i32 s8, s2, s6
	s_add_u32 s2, s10, s0
	s_addc_u32 s3, s11, s1
	s_load_dwordx2 s[2:3], s[2:3], 0x0
	v_mul_u32_u24_e32 v1, 0x184, v0
	v_lshrrev_b32_e32 v1, 16, v1
	v_mul_lo_u16_e32 v2, 0xa9, v1
	v_sub_u16_e32 v36, v0, v2
	s_waitcnt lgkmcnt(0)
	s_mul_i32 s3, s3, s19
	s_mul_hi_u32 s6, s2, s19
	s_add_i32 s3, s6, s3
	s_add_u32 s0, s20, s0
	s_addc_u32 s1, s21, s1
	s_load_dwordx2 s[44:45], s[0:1], 0x0
	v_mad_u64_u32 v[2:3], s[0:1], s16, v36, 0
	v_mov_b32_e32 v4, v3
	s_mul_i32 s2, s2, s19
	s_waitcnt lgkmcnt(0)
	s_mul_i32 s0, s45, s19
	s_mul_hi_u32 s1, s44, s19
	s_add_i32 s45, s1, s0
	v_mad_u64_u32 v[4:5], s[0:1], s17, v36, v[4:5]
	v_mov_b32_e32 v3, v4
	s_lshl_b64 s[0:1], s[2:3], 3
	v_add_u16_e32 v4, 0x9c, v0
	s_add_u32 s2, s12, s0
	v_mul_u32_u24_e32 v5, 0x184, v4
	s_addc_u32 s3, s13, s1
	s_lshl_b64 s[0:1], s[8:9], 3
	v_lshrrev_b32_e32 v37, 16, v5
	s_add_u32 s0, s2, s0
	v_mul_lo_u16_e32 v5, 0xa9, v37
	s_addc_u32 s1, s3, s1
	v_sub_u16_e32 v38, v4, v5
	v_mul_lo_u32 v6, s18, v1
	v_lshl_add_u64 v[2:3], v[2:3], 3, s[0:1]
	v_mad_u64_u32 v[4:5], s[2:3], s16, v38, 0
	v_lshl_add_u64 v[2:3], v[6:7], 3, v[2:3]
	v_mov_b32_e32 v6, v5
	v_mad_u64_u32 v[8:9], s[2:3], s17, v38, v[6:7]
	v_mov_b32_e32 v5, v8
	v_mul_lo_u32 v6, s18, v37
	v_lshl_add_u64 v[4:5], v[4:5], 3, s[0:1]
	s_mov_b32 s2, 0x1d40138
	v_lshl_add_u64 v[4:5], v[6:7], 3, v[4:5]
	v_pk_add_u16 v6, v0, s2 op_sel_hi:[0,1]
	v_and_b32_e32 v8, 0x3ff, v6
	s_movk_i32 s6, 0xc1f
	v_mul_u32_u24_e32 v8, 0xc1f, v8
	v_lshrrev_b32_e32 v12, 19, v8
	v_mul_u32_u24_sdwa v8, v6, s6 dst_sel:DWORD dst_unused:UNUSED_PAD src0_sel:WORD_1 src1_sel:DWORD
	v_lshrrev_b32_e32 v14, 19, v8
	s_mov_b32 s8, 0x5040100
	v_perm_b32 v39, v14, v12, s8
	v_pk_mul_lo_u16 v8, v39, s23 op_sel_hi:[1,0]
	s_mov_b32 s10, 0xbeb58ec6
	v_pk_sub_i16 v40, v6, v8
	s_mov_b32 s12, 0xbf29c268
	v_and_b32_e32 v10, 0xffff, v40
	v_mad_u64_u32 v[8:9], s[2:3], s16, v10, 0
	v_mov_b32_e32 v6, v9
	v_mad_u64_u32 v[10:11], s[2:3], s17, v10, v[6:7]
	v_mov_b32_e32 v9, v10
	v_mul_lo_u32 v6, s18, v12
	v_lshrrev_b32_e32 v12, 16, v40
	v_lshl_add_u64 v[8:9], v[8:9], 3, s[0:1]
	v_mad_u64_u32 v[10:11], s[2:3], s16, v12, 0
	v_lshl_add_u64 v[8:9], v[6:7], 3, v[8:9]
	v_mov_b32_e32 v6, v11
	v_mad_u64_u32 v[12:13], s[2:3], s17, v12, v[6:7]
	v_mov_b32_e32 v11, v12
	v_mul_lo_u32 v6, s18, v14
	v_lshl_add_u64 v[10:11], v[10:11], 3, s[0:1]
	s_mov_b32 s2, 0x30c0270
	v_lshl_add_u64 v[10:11], v[6:7], 3, v[10:11]
	global_load_dwordx2 v[12:13], v[2:3], off
	global_load_dwordx2 v[14:15], v[4:5], off
	global_load_dwordx2 v[16:17], v[8:9], off
	global_load_dwordx2 v[18:19], v[10:11], off
	v_pk_add_u16 v2, v0, s2 op_sel_hi:[0,1]
	v_and_b32_e32 v3, 0x3ff, v2
	v_mul_u32_u24_e32 v3, 0xc1f, v3
	v_lshrrev_b32_e32 v6, 19, v3
	v_mul_u32_u24_sdwa v3, v2, s6 dst_sel:DWORD dst_unused:UNUSED_PAD src0_sel:WORD_1 src1_sel:DWORD
	v_lshrrev_b32_e32 v10, 19, v3
	v_perm_b32 v41, v10, v6, s8
	v_pk_mul_lo_u16 v3, v41, s23 op_sel_hi:[1,0]
	v_mul_lo_u32 v6, s18, v6
	v_pk_sub_i16 v42, v2, v3
	s_mov_b32 s22, 0xbe750f2a
	v_and_b32_e32 v5, 0xffff, v42
	v_mad_u64_u32 v[2:3], s[2:3], s16, v5, 0
	v_mov_b32_e32 v4, v3
	v_mad_u64_u32 v[4:5], s[2:3], s17, v5, v[4:5]
	v_mov_b32_e32 v3, v4
	v_lshrrev_b32_e32 v8, 16, v42
	v_lshl_add_u64 v[2:3], v[2:3], 3, s[0:1]
	v_mad_u64_u32 v[4:5], s[2:3], s16, v8, 0
	v_lshl_add_u64 v[2:3], v[6:7], 3, v[2:3]
	v_mov_b32_e32 v6, v5
	v_mad_u64_u32 v[8:9], s[2:3], s17, v8, v[6:7]
	v_mov_b32_e32 v5, v8
	v_mul_lo_u32 v6, s18, v10
	v_lshl_add_u64 v[4:5], v[4:5], 3, s[0:1]
	s_mov_b32 s2, 0x44403a8
	v_lshl_add_u64 v[4:5], v[6:7], 3, v[4:5]
	v_pk_add_u16 v6, v0, s2 op_sel_hi:[0,1]
	v_and_b32_e32 v8, 0x7ff, v6
	v_mul_u32_u24_e32 v8, 0xc1f, v8
	v_lshrrev_b32_e32 v20, 19, v8
	v_mul_u32_u24_sdwa v8, v6, s6 dst_sel:DWORD dst_unused:UNUSED_PAD src0_sel:WORD_1 src1_sel:DWORD
	v_lshrrev_b32_e32 v22, 19, v8
	v_perm_b32 v43, v22, v20, s8
	v_pk_mul_lo_u16 v8, v43, s23 op_sel_hi:[1,0]
	s_mul_i32 s44, s44, s19
	v_pk_sub_i16 v44, v6, v8
	s_nop 0
	v_and_b32_e32 v10, 0xffff, v44
	v_mad_u64_u32 v[8:9], s[2:3], s16, v10, 0
	v_mov_b32_e32 v6, v9
	v_mad_u64_u32 v[10:11], s[2:3], s17, v10, v[6:7]
	v_mov_b32_e32 v9, v10
	v_mul_lo_u32 v6, s18, v20
	v_lshrrev_b32_e32 v20, 16, v44
	v_lshl_add_u64 v[8:9], v[8:9], 3, s[0:1]
	v_mad_u64_u32 v[10:11], s[2:3], s16, v20, 0
	v_lshl_add_u64 v[8:9], v[6:7], 3, v[8:9]
	v_mov_b32_e32 v6, v11
	v_mad_u64_u32 v[20:21], s[2:3], s17, v20, v[6:7]
	v_mov_b32_e32 v11, v20
	v_mul_lo_u32 v6, s18, v22
	v_lshl_add_u64 v[10:11], v[10:11], 3, s[0:1]
	s_mov_b32 s2, 0x57c04e0
	v_lshl_add_u64 v[10:11], v[6:7], 3, v[10:11]
	global_load_dwordx2 v[20:21], v[2:3], off
	global_load_dwordx2 v[22:23], v[4:5], off
	;; [unrolled: 1-line block ×4, first 2 shown]
	v_pk_add_u16 v2, v0, s2 op_sel_hi:[0,1]
	v_and_b32_e32 v3, 0x5ff, v2
	v_mul_u32_u24_e32 v3, 0xc1f, v3
	v_lshrrev_b32_e32 v6, 19, v3
	v_mul_u32_u24_sdwa v3, v2, s6 dst_sel:DWORD dst_unused:UNUSED_PAD src0_sel:WORD_1 src1_sel:DWORD
	v_lshrrev_b32_e32 v10, 19, v3
	v_perm_b32 v45, v10, v6, s8
	v_pk_mul_lo_u16 v3, v45, s23 op_sel_hi:[1,0]
	v_mul_lo_u32 v6, s18, v6
	v_pk_sub_i16 v46, v2, v3
	s_nop 0
	v_and_b32_e32 v5, 0xffff, v46
	v_mad_u64_u32 v[2:3], s[2:3], s16, v5, 0
	v_mov_b32_e32 v4, v3
	v_mad_u64_u32 v[4:5], s[2:3], s17, v5, v[4:5]
	v_mov_b32_e32 v3, v4
	v_lshrrev_b32_e32 v8, 16, v46
	v_lshl_add_u64 v[2:3], v[2:3], 3, s[0:1]
	v_mad_u64_u32 v[4:5], s[2:3], s16, v8, 0
	v_lshl_add_u64 v[2:3], v[6:7], 3, v[2:3]
	v_mov_b32_e32 v6, v5
	v_mad_u64_u32 v[8:9], s[2:3], s17, v8, v[6:7]
	v_mov_b32_e32 v5, v8
	v_mul_lo_u32 v6, s18, v10
	v_lshl_add_u64 v[4:5], v[4:5], 3, s[0:1]
	s_mov_b32 s2, 0x6b40618
	v_lshl_add_u64 v[4:5], v[6:7], 3, v[4:5]
	v_pk_add_u16 v6, v0, s2 op_sel_hi:[0,1]
	v_and_b32_e32 v8, 0x7ff, v6
	v_mul_u32_u24_e32 v8, 0xc1f, v8
	v_lshrrev_b32_e32 v28, 19, v8
	v_mul_u32_u24_sdwa v8, v6, s6 dst_sel:DWORD dst_unused:UNUSED_PAD src0_sel:WORD_1 src1_sel:DWORD
	v_lshrrev_b32_e32 v30, 19, v8
	v_perm_b32 v47, v30, v28, s8
	v_pk_mul_lo_u16 v8, v47, s23 op_sel_hi:[1,0]
	s_mov_b32 s6, 0x3f62ad3f
	v_pk_sub_i16 v48, v6, v8
	s_mov_b32 s8, 0xbf6f5d39
	v_and_b32_e32 v10, 0xffff, v48
	v_mad_u64_u32 v[8:9], s[2:3], s16, v10, 0
	v_mov_b32_e32 v6, v9
	v_mad_u64_u32 v[10:11], s[2:3], s17, v10, v[6:7]
	v_mov_b32_e32 v9, v10
	v_mul_lo_u32 v6, s18, v28
	v_lshrrev_b32_e32 v28, 16, v48
	v_lshl_add_u64 v[8:9], v[8:9], 3, s[0:1]
	v_mad_u64_u32 v[10:11], s[2:3], s16, v28, 0
	v_lshl_add_u64 v[8:9], v[6:7], 3, v[8:9]
	v_mov_b32_e32 v6, v11
	v_mad_u64_u32 v[28:29], s[2:3], s17, v28, v[6:7]
	v_mov_b32_e32 v11, v28
	v_mul_lo_u32 v6, s18, v30
	v_lshl_add_u64 v[10:11], v[10:11], 3, s[0:1]
	v_lshl_add_u64 v[10:11], v[6:7], 3, v[10:11]
	global_load_dwordx2 v[28:29], v[2:3], off
	global_load_dwordx2 v[30:31], v[4:5], off
	;; [unrolled: 1-line block ×4, first 2 shown]
	v_add_u16_e32 v2, 0x750, v0
	v_mul_u32_u24_e32 v3, 0xc1f, v2
	v_lshrrev_b32_e32 v9, 19, v3
	v_mul_lo_u16_e32 v3, 0xa9, v9
	v_sub_u16_e32 v10, v2, v3
	v_mad_u64_u32 v[2:3], s[2:3], s16, v10, 0
	v_mov_b32_e32 v4, v3
	v_mad_u64_u32 v[4:5], s[2:3], s17, v10, v[4:5]
	v_mov_b32_e32 v3, v4
	v_mul_lo_u32 v6, s18, v9
	v_lshl_add_u64 v[2:3], v[2:3], 3, s[0:1]
	v_lshl_add_u64 v[2:3], v[6:7], 3, v[2:3]
	global_load_dwordx2 v[2:3], v[2:3], off
	v_mul_u32_u24_e32 v4, 0x1556, v0
	v_lshrrev_b32_e32 v158, 16, v4
	v_mul_lo_u16_e32 v4, 12, v158
	v_sub_u16_e32 v8, v0, v4
	v_mul_lo_u16_e32 v4, 12, v36
	v_or_b32_e32 v1, v4, v1
	v_and_b32_e32 v1, 0xffff, v1
	v_lshl_add_u32 v1, v1, 3, 0
	s_waitcnt vmcnt(12)
	ds_write_b64 v1, v[12:13]
	v_mul_lo_u16_e32 v1, 12, v38
	v_or_b32_e32 v1, v1, v37
	v_and_b32_e32 v1, 0xffff, v1
	v_lshl_add_u32 v1, v1, 3, 0
	s_waitcnt vmcnt(11)
	ds_write_b64 v1, v[14:15]
	v_pk_mad_u16 v1, v40, 12, v39 op_sel_hi:[1,0,1]
	s_load_dwordx4 s[0:3], s[20:21], 0x0
	v_and_b32_e32 v4, 0xffff, v1
	v_bfe_u32 v1, v1, 16, 16
	v_lshl_add_u32 v4, v4, 3, 0
	v_lshl_add_u32 v1, v1, 3, 0
	s_waitcnt vmcnt(10)
	ds_write_b64 v4, v[16:17]
	s_waitcnt vmcnt(9)
	ds_write_b64 v1, v[18:19]
	v_pk_mad_u16 v1, v42, 12, v41 op_sel_hi:[1,0,1]
	s_waitcnt lgkmcnt(0)
	s_load_dword s3, s[20:21], 0x10
	v_and_b32_e32 v4, 0xffff, v1
	v_bfe_u32 v1, v1, 16, 16
	v_lshl_add_u32 v4, v4, 3, 0
	v_lshl_add_u32 v1, v1, 3, 0
	s_waitcnt vmcnt(8)
	ds_write_b64 v4, v[20:21]
	s_waitcnt vmcnt(7)
	ds_write_b64 v1, v[22:23]
	v_pk_mad_u16 v1, v44, 12, v43 op_sel_hi:[1,0,1]
	s_mov_b32 s16, 0xbf3f9e67
	v_and_b32_e32 v4, 0xffff, v1
	v_bfe_u32 v1, v1, 16, 16
	v_lshl_add_u32 v4, v4, 3, 0
	v_lshl_add_u32 v1, v1, 3, 0
	s_waitcnt vmcnt(6)
	ds_write_b64 v4, v[24:25]
	s_waitcnt vmcnt(5)
	ds_write_b64 v1, v[26:27]
	v_pk_mad_u16 v1, v46, 12, v45 op_sel_hi:[1,0,1]
	s_mov_b32 s18, 0x3f7e222b
	v_and_b32_e32 v4, 0xffff, v1
	v_bfe_u32 v1, v1, 16, 16
	v_lshl_add_u32 v4, v4, 3, 0
	v_lshl_add_u32 v1, v1, 3, 0
	s_mov_b32 s20, 0x3eedf032
	v_mul_u32_u24_e32 v0, 0x1a5, v0
	v_mul_lo_u16_sdwa v0, v0, s23 dst_sel:DWORD dst_unused:UNUSED_PAD src0_sel:WORD_1 src1_sel:DWORD
	s_waitcnt vmcnt(4)
	ds_write_b64 v4, v[28:29]
	s_waitcnt vmcnt(3)
	ds_write_b64 v1, v[30:31]
	v_pk_mad_u16 v1, v48, 12, v47 op_sel_hi:[1,0,1]
	s_nop 0
	v_and_b32_e32 v4, 0xffff, v1
	v_bfe_u32 v1, v1, 16, 16
	v_lshl_add_u32 v4, v4, 3, 0
	v_lshl_add_u32 v1, v1, 3, 0
	s_waitcnt vmcnt(2)
	ds_write_b64 v4, v[32:33]
	s_waitcnt vmcnt(1)
	ds_write_b64 v1, v[34:35]
	v_mad_legacy_u16 v1, v10, 12, v9
	v_lshl_add_u32 v1, v1, 3, 0
	s_waitcnt vmcnt(0)
	ds_write_b64 v1, v[2:3]
	v_mul_u32_u24_e32 v1, 0x60, v158
	v_lshlrev_b32_e32 v2, 3, v8
	v_add3_u32 v1, 0, v1, v2
	v_add_u32_e32 v2, 0x1200, v1
	s_waitcnt lgkmcnt(0)
	s_barrier
	v_add_u32_e32 v6, 0x800, v1
	ds_read2_b64 v[20:23], v2 offset0:48 offset1:204
	v_add_u32_e32 v2, 0x1c00, v1
	ds_read2_b64 v[14:17], v6 offset0:56 offset1:212
	ds_read2_b64 v[28:31], v2 offset0:40 offset1:196
	v_add_u32_e32 v9, 0x2400, v1
	ds_read2_b64 v[2:5], v1 offset1:156
	ds_read2_b64 v[24:27], v9 offset0:96 offset1:252
	v_add_u32_e32 v9, 0x3000, v1
	ds_read2_b64 v[32:35], v9 offset0:24 offset1:180
	ds_read_b64 v[10:11], v1 offset:14976
	s_waitcnt lgkmcnt(4)
	v_pk_add_f32 v[74:75], v[28:29], v[30:31] neg_lo:[0,1] neg_hi:[0,1]
	s_waitcnt lgkmcnt(3)
	v_pk_add_f32 v[12:13], v[2:3], v[4:5]
	s_waitcnt lgkmcnt(2)
	v_pk_add_f32 v[66:67], v[20:21], v[26:27] neg_lo:[0,1] neg_hi:[0,1]
	v_pk_add_f32 v[12:13], v[12:13], v[14:15]
	s_waitcnt lgkmcnt(0)
	v_pk_add_f32 v[54:55], v[4:5], v[10:11] neg_lo:[0,1] neg_hi:[0,1]
	v_pk_add_f32 v[12:13], v[12:13], v[16:17]
	v_pk_add_f32 v[52:53], v[10:11], v[4:5]
	;; [unrolled: 1-line block ×3, first 2 shown]
	v_pk_add_f32 v[58:59], v[14:15], v[34:35] neg_lo:[0,1] neg_hi:[0,1]
	v_pk_add_f32 v[12:13], v[12:13], v[22:23]
	v_pk_add_f32 v[56:57], v[34:35], v[14:15]
	;; [unrolled: 1-line block ×3, first 2 shown]
	v_pk_mul_f32 v[14:15], v[58:59], s[24:25] op_sel_hi:[1,0]
	v_pk_add_f32 v[12:13], v[12:13], v[30:31]
	v_pk_add_f32 v[62:63], v[16:17], v[32:33] neg_lo:[0,1] neg_hi:[0,1]
	v_pk_add_f32 v[12:13], v[12:13], v[24:25]
	v_pk_add_f32 v[60:61], v[32:33], v[16:17]
	;; [unrolled: 1-line block ×5, first 2 shown]
	v_pk_mul_f32 v[26:27], v[66:67], s[8:9] op_sel_hi:[1,0]
	v_pk_add_f32 v[12:13], v[12:13], v[34:35]
	v_pk_add_f32 v[68:69], v[24:25], v[22:23]
	;; [unrolled: 1-line block ×3, first 2 shown]
	v_pk_mul_f32 v[10:11], v[54:55], s[48:49] op_sel_hi:[1,0]
	v_pk_add_f32 v[70:71], v[22:23], v[24:25] neg_lo:[0,1] neg_hi:[0,1]
	v_pk_fma_f32 v[4:5], v[52:53], s[6:7], v[10:11] op_sel:[0,0,1] op_sel_hi:[1,0,0]
	v_pk_fma_f32 v[10:11], v[52:53], s[6:7], v[10:11] op_sel:[0,0,1] op_sel_hi:[1,0,0] neg_lo:[0,0,1] neg_hi:[0,0,1]
	v_mov_b32_e32 v12, v4
	v_mov_b32_e32 v13, v11
	v_pk_add_f32 v[18:19], v[2:3], v[12:13]
	v_pk_fma_f32 v[12:13], v[56:57], s[26:27], v[14:15] op_sel:[0,0,1] op_sel_hi:[1,0,0]
	v_pk_fma_f32 v[14:15], v[56:57], s[26:27], v[14:15] op_sel:[0,0,1] op_sel_hi:[1,0,0] neg_lo:[0,0,1] neg_hi:[0,0,1]
	v_mov_b32_e32 v34, v12
	v_mov_b32_e32 v35, v15
	v_pk_add_f32 v[34:35], v[34:35], v[18:19]
	v_pk_mul_f32 v[18:19], v[62:63], s[34:35] op_sel_hi:[1,0]
	v_pk_fma_f32 v[20:21], v[64:65], s[10:11], v[26:27] op_sel:[0,0,1] op_sel_hi:[1,0,0]
	v_pk_fma_f32 v[16:17], v[60:61], s[36:37], v[18:19] op_sel:[0,0,1] op_sel_hi:[1,0,0]
	v_pk_fma_f32 v[18:19], v[60:61], s[36:37], v[18:19] op_sel:[0,0,1] op_sel_hi:[1,0,0] neg_lo:[0,0,1] neg_hi:[0,0,1]
	v_mov_b32_e32 v32, v16
	v_mov_b32_e32 v33, v19
	v_pk_fma_f32 v[22:23], v[64:65], s[10:11], v[26:27] op_sel:[0,0,1] op_sel_hi:[1,0,0] neg_lo:[0,0,1] neg_hi:[0,0,1]
	v_pk_add_f32 v[32:33], v[32:33], v[34:35]
	v_mov_b32_e32 v24, v20
	v_mov_b32_e32 v25, v23
	v_pk_mul_f32 v[26:27], v[70:71], s[12:13] op_sel_hi:[1,0]
	v_pk_add_f32 v[32:33], v[24:25], v[32:33]
	v_pk_fma_f32 v[24:25], v[68:69], s[16:17], v[26:27] op_sel:[0,0,1] op_sel_hi:[1,0,0]
	v_pk_fma_f32 v[26:27], v[68:69], s[16:17], v[26:27] op_sel:[0,0,1] op_sel_hi:[1,0,0] neg_lo:[0,0,1] neg_hi:[0,0,1]
	v_pk_add_f32 v[72:73], v[30:31], v[28:29]
	v_pk_mul_f32 v[30:31], v[74:75], s[22:23] op_sel_hi:[1,0]
	v_mov_b32_e32 v34, v24
	v_mov_b32_e32 v35, v27
	v_pk_fma_f32 v[28:29], v[72:73], s[28:29], v[30:31] op_sel:[0,0,1] op_sel_hi:[1,0,0]
	v_pk_fma_f32 v[30:31], v[72:73], s[28:29], v[30:31] op_sel:[0,0,1] op_sel_hi:[1,0,0] neg_lo:[0,0,1] neg_hi:[0,0,1]
	v_pk_add_f32 v[32:33], v[34:35], v[32:33]
	v_mov_b32_e32 v34, v28
	v_mov_b32_e32 v35, v31
	s_movk_i32 s11, 0x480
	v_pk_add_f32 v[32:33], v[34:35], v[32:33]
	v_mad_u32_u24 v4, v158, s11, v1
	s_barrier
	ds_write2_b64 v4, v[36:37], v[32:33] offset1:12
	v_pk_mul_f32 v[32:33], v[54:55], s[24:25] op_sel_hi:[1,0]
	v_pk_mul_f32 v[88:89], v[58:59], s[22:23] op_sel_hi:[1,0]
	v_pk_fma_f32 v[34:35], v[52:53], s[26:27], v[32:33] op_sel:[0,0,1] op_sel_hi:[1,0,0]
	v_pk_fma_f32 v[32:33], v[52:53], s[26:27], v[32:33] op_sel:[0,0,1] op_sel_hi:[1,0,0] neg_lo:[0,0,1] neg_hi:[0,0,1]
	v_mov_b32_e32 v36, v34
	v_mov_b32_e32 v37, v33
	v_pk_add_f32 v[40:41], v[2:3], v[36:37]
	v_pk_mul_f32 v[36:37], v[58:59], s[8:9] op_sel_hi:[1,0]
	v_pk_fma_f32 v[90:91], v[56:57], s[28:29], v[88:89] op_sel:[0,0,1] op_sel_hi:[1,0,0]
	v_pk_fma_f32 v[38:39], v[56:57], s[10:11], v[36:37] op_sel:[0,0,1] op_sel_hi:[1,0,0]
	v_pk_fma_f32 v[36:37], v[56:57], s[10:11], v[36:37] op_sel:[0,0,1] op_sel_hi:[1,0,0] neg_lo:[0,0,1] neg_hi:[0,0,1]
	v_mov_b32_e32 v42, v38
	v_mov_b32_e32 v43, v37
	v_pk_add_f32 v[44:45], v[42:43], v[40:41]
	v_pk_mul_f32 v[42:43], v[62:63], s[22:23] op_sel_hi:[1,0]
	v_pk_fma_f32 v[88:89], v[56:57], s[28:29], v[88:89] op_sel:[0,0,1] op_sel_hi:[1,0,0] neg_lo:[0,0,1] neg_hi:[0,0,1]
	v_pk_fma_f32 v[40:41], v[60:61], s[28:29], v[42:43] op_sel:[0,0,1] op_sel_hi:[1,0,0]
	v_pk_fma_f32 v[42:43], v[60:61], s[28:29], v[42:43] op_sel:[0,0,1] op_sel_hi:[1,0,0] neg_lo:[0,0,1] neg_hi:[0,0,1]
	v_mov_b32_e32 v46, v40
	v_mov_b32_e32 v47, v43
	v_pk_add_f32 v[48:49], v[46:47], v[44:45]
	v_pk_mul_f32 v[46:47], v[66:67], s[42:43] op_sel_hi:[1,0]
	v_mov_b32_e32 v92, v90
	v_pk_fma_f32 v[44:45], v[64:65], s[16:17], v[46:47] op_sel:[0,0,1] op_sel_hi:[1,0,0]
	v_pk_fma_f32 v[46:47], v[64:65], s[16:17], v[46:47] op_sel:[0,0,1] op_sel_hi:[1,0,0] neg_lo:[0,0,1] neg_hi:[0,0,1]
	v_mov_b32_e32 v50, v44
	v_mov_b32_e32 v51, v47
	v_pk_add_f32 v[76:77], v[50:51], v[48:49]
	v_pk_mul_f32 v[50:51], v[70:71], s[18:19] op_sel_hi:[1,0]
	v_mov_b32_e32 v93, v89
	v_pk_fma_f32 v[48:49], v[68:69], s[36:37], v[50:51] op_sel:[0,0,1] op_sel_hi:[1,0,0]
	v_pk_fma_f32 v[50:51], v[68:69], s[36:37], v[50:51] op_sel:[0,0,1] op_sel_hi:[1,0,0] neg_lo:[0,0,1] neg_hi:[0,0,1]
	v_mov_b32_e32 v78, v48
	v_mov_b32_e32 v79, v51
	v_pk_add_f32 v[76:77], v[78:79], v[76:77]
	v_pk_mul_f32 v[78:79], v[74:75], s[20:21] op_sel_hi:[1,0]
	v_pk_mul_f32 v[110:111], v[58:59], s[42:43] op_sel_hi:[1,0]
	v_pk_fma_f32 v[80:81], v[72:73], s[6:7], v[78:79] op_sel:[0,0,1] op_sel_hi:[1,0,0]
	v_pk_fma_f32 v[78:79], v[72:73], s[6:7], v[78:79] op_sel:[0,0,1] op_sel_hi:[1,0,0] neg_lo:[0,0,1] neg_hi:[0,0,1]
	v_mov_b32_e32 v82, v80
	v_mov_b32_e32 v83, v79
	v_pk_add_f32 v[76:77], v[82:83], v[76:77]
	v_pk_mul_f32 v[82:83], v[54:55], s[34:35] op_sel_hi:[1,0]
	v_pk_fma_f32 v[112:113], v[56:57], s[16:17], v[110:111] op_sel:[0,0,1] op_sel_hi:[1,0,0]
	v_pk_fma_f32 v[84:85], v[52:53], s[36:37], v[82:83] op_sel:[0,0,1] op_sel_hi:[1,0,0]
	v_pk_fma_f32 v[82:83], v[52:53], s[36:37], v[82:83] op_sel:[0,0,1] op_sel_hi:[1,0,0] neg_lo:[0,0,1] neg_hi:[0,0,1]
	v_mov_b32_e32 v86, v84
	v_mov_b32_e32 v87, v83
	v_pk_add_f32 v[86:87], v[2:3], v[86:87]
	v_pk_fma_f32 v[110:111], v[56:57], s[16:17], v[110:111] op_sel:[0,0,1] op_sel_hi:[1,0,0] neg_lo:[0,0,1] neg_hi:[0,0,1]
	v_pk_add_f32 v[86:87], v[92:93], v[86:87]
	v_pk_mul_f32 v[92:93], v[62:63], s[46:47] op_sel_hi:[1,0]
	v_mov_b32_e32 v114, v112
	v_pk_fma_f32 v[94:95], v[60:61], s[10:11], v[92:93] op_sel:[0,0,1] op_sel_hi:[1,0,0]
	v_pk_fma_f32 v[92:93], v[60:61], s[10:11], v[92:93] op_sel:[0,0,1] op_sel_hi:[1,0,0] neg_lo:[0,0,1] neg_hi:[0,0,1]
	v_mov_b32_e32 v96, v94
	v_mov_b32_e32 v97, v93
	v_pk_add_f32 v[86:87], v[96:97], v[86:87]
	v_pk_mul_f32 v[96:97], v[66:67], s[20:21] op_sel_hi:[1,0]
	v_mov_b32_e32 v115, v111
	v_pk_fma_f32 v[98:99], v[64:65], s[6:7], v[96:97] op_sel:[0,0,1] op_sel_hi:[1,0,0]
	v_pk_fma_f32 v[96:97], v[64:65], s[6:7], v[96:97] op_sel:[0,0,1] op_sel_hi:[1,0,0] neg_lo:[0,0,1] neg_hi:[0,0,1]
	v_mov_b32_e32 v100, v98
	v_mov_b32_e32 v101, v97
	v_pk_add_f32 v[86:87], v[100:101], v[86:87]
	v_pk_mul_f32 v[100:101], v[70:71], s[24:25] op_sel_hi:[1,0]
	v_pk_mul_f32 v[136:137], v[58:59], s[18:19] op_sel_hi:[1,0]
	v_pk_fma_f32 v[102:103], v[68:69], s[26:27], v[100:101] op_sel:[0,0,1] op_sel_hi:[1,0,0]
	v_pk_fma_f32 v[100:101], v[68:69], s[26:27], v[100:101] op_sel:[0,0,1] op_sel_hi:[1,0,0] neg_lo:[0,0,1] neg_hi:[0,0,1]
	v_mov_b32_e32 v104, v102
	v_mov_b32_e32 v105, v101
	v_pk_add_f32 v[86:87], v[104:105], v[86:87]
	v_pk_mul_f32 v[104:105], v[74:75], s[12:13] op_sel_hi:[1,0]
	v_pk_fma_f32 v[138:139], v[56:57], s[36:37], v[136:137] op_sel:[0,0,1] op_sel_hi:[1,0,0]
	v_pk_fma_f32 v[106:107], v[72:73], s[16:17], v[104:105] op_sel:[0,0,1] op_sel_hi:[1,0,0]
	v_pk_fma_f32 v[104:105], v[72:73], s[16:17], v[104:105] op_sel:[0,0,1] op_sel_hi:[1,0,0] neg_lo:[0,0,1] neg_hi:[0,0,1]
	v_mov_b32_e32 v108, v106
	v_mov_b32_e32 v109, v105
	v_pk_add_f32 v[86:87], v[108:109], v[86:87]
	ds_write2_b64 v4, v[76:77], v[86:87] offset0:24 offset1:36
	v_pk_mul_f32 v[76:77], v[54:55], s[8:9] op_sel_hi:[1,0]
	v_pk_fma_f32 v[136:137], v[56:57], s[36:37], v[136:137] op_sel:[0,0,1] op_sel_hi:[1,0,0] neg_lo:[0,0,1] neg_hi:[0,0,1]
	v_pk_fma_f32 v[86:87], v[52:53], s[10:11], v[76:77] op_sel:[0,0,1] op_sel_hi:[1,0,0]
	v_pk_fma_f32 v[76:77], v[52:53], s[10:11], v[76:77] op_sel:[0,0,1] op_sel_hi:[1,0,0] neg_lo:[0,0,1] neg_hi:[0,0,1]
	v_mov_b32_e32 v108, v86
	v_mov_b32_e32 v109, v77
	v_pk_add_f32 v[108:109], v[2:3], v[108:109]
	v_mov_b32_e32 v140, v138
	v_pk_add_f32 v[108:109], v[114:115], v[108:109]
	v_pk_mul_f32 v[114:115], v[62:63], s[20:21] op_sel_hi:[1,0]
	v_mov_b32_e32 v141, v137
	v_pk_fma_f32 v[116:117], v[60:61], s[6:7], v[114:115] op_sel:[0,0,1] op_sel_hi:[1,0,0]
	v_pk_fma_f32 v[114:115], v[60:61], s[6:7], v[114:115] op_sel:[0,0,1] op_sel_hi:[1,0,0] neg_lo:[0,0,1] neg_hi:[0,0,1]
	v_mov_b32_e32 v118, v116
	v_mov_b32_e32 v119, v115
	v_pk_add_f32 v[108:109], v[118:119], v[108:109]
	v_pk_mul_f32 v[118:119], v[66:67], s[34:35] op_sel_hi:[1,0]
	v_mov_b32_e32 v77, v87
	v_pk_fma_f32 v[120:121], v[64:65], s[36:37], v[118:119] op_sel:[0,0,1] op_sel_hi:[1,0,0]
	v_pk_fma_f32 v[118:119], v[64:65], s[36:37], v[118:119] op_sel:[0,0,1] op_sel_hi:[1,0,0] neg_lo:[0,0,1] neg_hi:[0,0,1]
	v_mov_b32_e32 v122, v120
	v_mov_b32_e32 v123, v119
	v_pk_add_f32 v[108:109], v[122:123], v[108:109]
	v_pk_mul_f32 v[122:123], v[70:71], s[38:39] op_sel_hi:[1,0]
	v_mov_b32_e32 v137, v139
	v_pk_fma_f32 v[124:125], v[68:69], s[28:29], v[122:123] op_sel:[0,0,1] op_sel_hi:[1,0,0]
	v_pk_fma_f32 v[122:123], v[68:69], s[28:29], v[122:123] op_sel:[0,0,1] op_sel_hi:[1,0,0] neg_lo:[0,0,1] neg_hi:[0,0,1]
	v_mov_b32_e32 v126, v124
	v_mov_b32_e32 v127, v123
	v_pk_add_f32 v[108:109], v[126:127], v[108:109]
	v_pk_mul_f32 v[126:127], v[74:75], s[30:31] op_sel_hi:[1,0]
	v_mov_b32_e32 v111, v113
	v_pk_fma_f32 v[128:129], v[72:73], s[26:27], v[126:127] op_sel:[0,0,1] op_sel_hi:[1,0,0]
	v_pk_fma_f32 v[126:127], v[72:73], s[26:27], v[126:127] op_sel:[0,0,1] op_sel_hi:[1,0,0] neg_lo:[0,0,1] neg_hi:[0,0,1]
	v_mov_b32_e32 v130, v128
	v_mov_b32_e32 v131, v127
	v_pk_add_f32 v[108:109], v[130:131], v[108:109]
	v_pk_mul_f32 v[130:131], v[54:55], s[12:13] op_sel_hi:[1,0]
	v_pk_mul_f32 v[54:55], v[54:55], s[22:23] op_sel_hi:[1,0]
	v_pk_fma_f32 v[132:133], v[52:53], s[16:17], v[130:131] op_sel:[0,0,1] op_sel_hi:[1,0,0]
	v_pk_fma_f32 v[130:131], v[52:53], s[16:17], v[130:131] op_sel:[0,0,1] op_sel_hi:[1,0,0] neg_lo:[0,0,1] neg_hi:[0,0,1]
	v_mov_b32_e32 v134, v132
	v_mov_b32_e32 v135, v131
	v_pk_add_f32 v[134:135], v[2:3], v[134:135]
	v_mov_b32_e32 v131, v133
	v_pk_add_f32 v[134:135], v[140:141], v[134:135]
	v_pk_mul_f32 v[140:141], v[62:63], s[24:25] op_sel_hi:[1,0]
	v_pk_mul_f32 v[62:63], v[62:63], s[12:13] op_sel_hi:[1,0]
	v_pk_fma_f32 v[142:143], v[60:61], s[26:27], v[140:141] op_sel:[0,0,1] op_sel_hi:[1,0,0]
	v_pk_fma_f32 v[140:141], v[60:61], s[26:27], v[140:141] op_sel:[0,0,1] op_sel_hi:[1,0,0] neg_lo:[0,0,1] neg_hi:[0,0,1]
	v_mov_b32_e32 v144, v142
	v_mov_b32_e32 v145, v141
	v_pk_add_f32 v[134:135], v[144:145], v[134:135]
	v_pk_mul_f32 v[144:145], v[66:67], s[38:39] op_sel_hi:[1,0]
	v_mov_b32_e32 v141, v143
	v_pk_fma_f32 v[146:147], v[64:65], s[28:29], v[144:145] op_sel:[0,0,1] op_sel_hi:[1,0,0]
	v_pk_fma_f32 v[144:145], v[64:65], s[28:29], v[144:145] op_sel:[0,0,1] op_sel_hi:[1,0,0] neg_lo:[0,0,1] neg_hi:[0,0,1]
	v_mov_b32_e32 v148, v146
	v_mov_b32_e32 v149, v145
	v_pk_add_f32 v[134:135], v[148:149], v[134:135]
	v_pk_mul_f32 v[148:149], v[70:71], s[20:21] op_sel_hi:[1,0]
	v_mov_b32_e32 v115, v117
	;; [unrolled: 7-line block ×3, first 2 shown]
	v_pk_fma_f32 v[154:155], v[72:73], s[10:11], v[152:153] op_sel:[0,0,1] op_sel_hi:[1,0,0]
	v_pk_fma_f32 v[152:153], v[72:73], s[10:11], v[152:153] op_sel:[0,0,1] op_sel_hi:[1,0,0] neg_lo:[0,0,1] neg_hi:[0,0,1]
	v_mov_b32_e32 v156, v154
	v_mov_b32_e32 v157, v153
	v_pk_add_f32 v[134:135], v[156:157], v[134:135]
	ds_write2_b64 v4, v[108:109], v[134:135] offset0:48 offset1:60
	v_pk_fma_f32 v[108:109], v[52:53], s[28:29], v[54:55] op_sel:[0,0,1] op_sel_hi:[1,0,0]
	v_pk_fma_f32 v[52:53], v[52:53], s[28:29], v[54:55] op_sel:[0,0,1] op_sel_hi:[1,0,0] neg_lo:[0,0,1] neg_hi:[0,0,1]
	v_pk_mul_f32 v[54:55], v[58:59], s[20:21] op_sel_hi:[1,0]
	v_mov_b32_e32 v119, v121
	v_pk_fma_f32 v[58:59], v[56:57], s[6:7], v[54:55] op_sel:[0,0,1] op_sel_hi:[1,0,0]
	v_pk_fma_f32 v[54:55], v[56:57], s[6:7], v[54:55] op_sel:[0,0,1] op_sel_hi:[1,0,0] neg_lo:[0,0,1] neg_hi:[0,0,1]
	v_mov_b32_e32 v56, v108
	v_mov_b32_e32 v57, v53
	v_pk_add_f32 v[56:57], v[2:3], v[56:57]
	v_mov_b32_e32 v134, v58
	v_mov_b32_e32 v135, v55
	v_pk_add_f32 v[56:57], v[134:135], v[56:57]
	v_pk_fma_f32 v[134:135], v[60:61], s[16:17], v[62:63] op_sel:[0,0,1] op_sel_hi:[1,0,0]
	v_pk_fma_f32 v[60:61], v[60:61], s[16:17], v[62:63] op_sel:[0,0,1] op_sel_hi:[1,0,0] neg_lo:[0,0,1] neg_hi:[0,0,1]
	v_mov_b32_e32 v62, v134
	v_mov_b32_e32 v63, v61
	v_pk_add_f32 v[56:57], v[62:63], v[56:57]
	v_pk_mul_f32 v[62:63], v[66:67], s[30:31] op_sel_hi:[1,0]
	v_mov_b32_e32 v53, v109
	v_pk_fma_f32 v[66:67], v[64:65], s[26:27], v[62:63] op_sel:[0,0,1] op_sel_hi:[1,0,0]
	v_pk_fma_f32 v[62:63], v[64:65], s[26:27], v[62:63] op_sel:[0,0,1] op_sel_hi:[1,0,0] neg_lo:[0,0,1] neg_hi:[0,0,1]
	v_mov_b32_e32 v64, v66
	v_mov_b32_e32 v65, v63
	v_pk_add_f32 v[56:57], v[64:65], v[56:57]
	v_pk_mul_f32 v[64:65], v[70:71], s[8:9] op_sel_hi:[1,0]
	v_mov_b32_e32 v55, v59
	v_pk_fma_f32 v[70:71], v[68:69], s[10:11], v[64:65] op_sel:[0,0,1] op_sel_hi:[1,0,0]
	v_pk_fma_f32 v[64:65], v[68:69], s[10:11], v[64:65] op_sel:[0,0,1] op_sel_hi:[1,0,0] neg_lo:[0,0,1] neg_hi:[0,0,1]
	v_pk_add_f32 v[52:53], v[2:3], v[52:53]
	v_mov_b32_e32 v68, v70
	v_mov_b32_e32 v69, v65
	v_pk_add_f32 v[52:53], v[54:55], v[52:53]
	v_mov_b32_e32 v61, v135
	v_pk_add_f32 v[56:57], v[68:69], v[56:57]
	v_pk_mul_f32 v[68:69], v[74:75], s[18:19] op_sel_hi:[1,0]
	v_pk_add_f32 v[52:53], v[60:61], v[52:53]
	v_mov_b32_e32 v63, v67
	v_pk_fma_f32 v[74:75], v[72:73], s[36:37], v[68:69] op_sel:[0,0,1] op_sel_hi:[1,0,0]
	v_pk_fma_f32 v[68:69], v[72:73], s[36:37], v[68:69] op_sel:[0,0,1] op_sel_hi:[1,0,0] neg_lo:[0,0,1] neg_hi:[0,0,1]
	v_pk_add_f32 v[52:53], v[62:63], v[52:53]
	v_mov_b32_e32 v65, v71
	v_mov_b32_e32 v72, v74
	;; [unrolled: 1-line block ×3, first 2 shown]
	v_pk_add_f32 v[52:53], v[64:65], v[52:53]
	v_mov_b32_e32 v69, v75
	v_pk_add_f32 v[56:57], v[72:73], v[56:57]
	v_pk_add_f32 v[52:53], v[68:69], v[52:53]
	ds_write2_b64 v4, v[56:57], v[52:53] offset0:72 offset1:84
	v_pk_add_f32 v[52:53], v[2:3], v[130:131]
	v_pk_add_f32 v[54:55], v[2:3], v[76:77]
	;; [unrolled: 1-line block ×7, first 2 shown]
	v_mov_b32_e32 v149, v151
	v_pk_add_f32 v[54:55], v[118:119], v[54:55]
	v_mov_b32_e32 v123, v125
	v_pk_add_f32 v[52:53], v[148:149], v[52:53]
	;; [unrolled: 2-line block ×4, first 2 shown]
	v_pk_add_f32 v[54:55], v[126:127], v[54:55]
	v_mov_b32_e32 v83, v85
	v_mov_b32_e32 v33, v35
	;; [unrolled: 1-line block ×3, first 2 shown]
	ds_write2_b64 v4, v[52:53], v[54:55] offset0:96 offset1:108
	v_pk_add_f32 v[52:53], v[2:3], v[82:83]
	v_pk_add_f32 v[32:33], v[2:3], v[32:33]
	;; [unrolled: 1-line block ×3, first 2 shown]
	v_mov_b32_e32 v15, v13
	v_pk_add_f32 v[2:3], v[14:15], v[2:3]
	v_mov_b32_e32 v19, v17
	v_pk_add_f32 v[2:3], v[18:19], v[2:3]
	;; [unrolled: 2-line block ×4, first 2 shown]
	v_mov_b32_e32 v31, v29
	v_mov_b32_e32 v89, v91
	;; [unrolled: 1-line block ×3, first 2 shown]
	v_pk_add_f32 v[2:3], v[30:31], v[2:3]
	v_pk_add_f32 v[52:53], v[88:89], v[52:53]
	v_mov_b32_e32 v93, v95
	v_pk_add_f32 v[32:33], v[36:37], v[32:33]
	v_mov_b32_e32 v43, v41
	ds_write_b64 v4, v[2:3] offset:1152
	v_mul_lo_u16_e32 v2, 20, v158
	v_mov_b32_e32 v3, 13
	v_pk_add_f32 v[52:53], v[92:93], v[52:53]
	v_mov_b32_e32 v97, v99
	v_pk_add_f32 v[32:33], v[42:43], v[32:33]
	v_mov_b32_e32 v47, v45
	v_mul_lo_u16_sdwa v2, v2, v3 dst_sel:DWORD dst_unused:UNUSED_PAD src0_sel:BYTE_1 src1_sel:DWORD
	v_pk_add_f32 v[52:53], v[96:97], v[52:53]
	v_mov_b32_e32 v101, v103
	v_pk_add_f32 v[32:33], v[46:47], v[32:33]
	v_mov_b32_e32 v51, v49
	v_sub_u16_e32 v66, v158, v2
	v_mov_b32_e32 v2, 12
	v_pk_add_f32 v[52:53], v[100:101], v[52:53]
	v_mov_b32_e32 v105, v107
	v_pk_add_f32 v[32:33], v[50:51], v[32:33]
	v_mov_b32_e32 v79, v81
	v_mul_u32_u24_sdwa v2, v66, v2 dst_sel:DWORD dst_unused:UNUSED_PAD src0_sel:BYTE_0 src1_sel:DWORD
	v_pk_add_f32 v[52:53], v[104:105], v[52:53]
	v_pk_add_f32 v[32:33], v[78:79], v[32:33]
	v_lshlrev_b32_e32 v2, 3, v2
	ds_write2_b64 v4, v[52:53], v[32:33] offset0:120 offset1:132
	s_waitcnt lgkmcnt(0)
	s_barrier
	global_load_dwordx4 v[10:13], v2, s[4:5] offset:32
	global_load_dwordx4 v[14:17], v2, s[4:5] offset:48
	;; [unrolled: 1-line block ×4, first 2 shown]
	global_load_dwordx4 v[26:29], v2, s[4:5]
	global_load_dwordx4 v[30:33], v2, s[4:5] offset:16
	ds_read2_b64 v[2:5], v1 offset1:156
	ds_read2_b64 v[34:37], v6 offset0:56 offset1:212
	v_add_u32_e32 v6, 0x1800, v1
	ds_read2_b64 v[38:41], v6 offset0:12 offset1:168
	v_add_u32_e32 v6, 0x2000, v1
	;; [unrolled: 2-line block ×4, first 2 shown]
	ds_read2_b64 v[50:53], v6 offset0:52 offset1:208
	v_mov_b32_e32 v9, v7
	v_lshl_add_u64 v[8:9], s[40:41], 0, v[8:9]
	v_add_u32_e32 v1, 0x1000, v1
	s_lshl_b64 s[4:5], s[44:45], 3
	v_add_u32_sdwa v0, v66, v0 dst_sel:DWORD dst_unused:UNUSED_PAD src0_sel:BYTE_0 src1_sel:DWORD
	s_mov_b32 s49, s6
	s_mov_b32 s27, s24
	;; [unrolled: 1-line block ×16, first 2 shown]
	s_waitcnt vmcnt(5) lgkmcnt(3)
	v_pk_mul_f32 v[54:55], v[38:39], v[10:11] op_sel:[0,1]
	v_mov_b32_e32 v6, v13
	v_pk_fma_f32 v[56:57], v[38:39], v[10:11], v[54:55] op_sel:[0,0,1] op_sel_hi:[1,0,0]
	v_pk_fma_f32 v[54:55], v[38:39], v[10:11], v[54:55] op_sel:[0,0,1] op_sel_hi:[1,0,0] neg_lo:[0,0,1] neg_hi:[0,0,1]
	v_pk_mul_f32 v[10:11], v[40:41], v[6:7] op_sel_hi:[1,0]
	s_waitcnt vmcnt(4)
	v_mov_b32_e32 v6, v17
	v_pk_fma_f32 v[58:59], v[40:41], v[12:13], v[10:11] op_sel:[0,0,1] op_sel_hi:[1,0,0]
	v_pk_fma_f32 v[60:61], v[40:41], v[12:13], v[10:11] op_sel:[0,0,1] op_sel_hi:[1,0,0] neg_lo:[0,0,1] neg_hi:[0,0,1]
	s_waitcnt lgkmcnt(2)
	v_pk_mul_f32 v[10:11], v[42:43], v[14:15] op_sel:[0,1]
	s_nop 0
	v_pk_fma_f32 v[40:41], v[42:43], v[14:15], v[10:11] op_sel:[0,0,1] op_sel_hi:[1,0,0]
	v_pk_fma_f32 v[62:63], v[42:43], v[14:15], v[10:11] op_sel:[0,0,1] op_sel_hi:[1,0,0] neg_lo:[0,0,1] neg_hi:[0,0,1]
	v_pk_mul_f32 v[10:11], v[44:45], v[6:7] op_sel_hi:[1,0]
	s_waitcnt vmcnt(3)
	v_mov_b32_e32 v6, v21
	v_pk_fma_f32 v[38:39], v[44:45], v[16:17], v[10:11] op_sel:[0,0,1] op_sel_hi:[1,0,0]
	v_pk_fma_f32 v[64:65], v[44:45], v[16:17], v[10:11] op_sel:[0,0,1] op_sel_hi:[1,0,0] neg_lo:[0,0,1] neg_hi:[0,0,1]
	s_waitcnt lgkmcnt(1)
	v_pk_mul_f32 v[10:11], v[46:47], v[18:19] op_sel:[0,1]
	s_nop 0
	;; [unrolled: 10-line block ×3, first 2 shown]
	v_pk_fma_f32 v[12:13], v[50:51], v[22:23], v[10:11] op_sel:[0,0,1] op_sel_hi:[1,0,0]
	v_pk_fma_f32 v[42:43], v[50:51], v[22:23], v[10:11] op_sel:[0,0,1] op_sel_hi:[1,0,0] neg_lo:[0,0,1] neg_hi:[0,0,1]
	v_pk_mul_f32 v[10:11], v[52:53], v[6:7] op_sel_hi:[1,0]
	v_mul_lo_u32 v6, v8, s1
	v_pk_fma_f32 v[22:23], v[52:53], v[24:25], v[10:11] op_sel:[0,0,1] op_sel_hi:[1,0,0]
	v_pk_fma_f32 v[24:25], v[52:53], v[24:25], v[10:11] op_sel:[0,0,1] op_sel_hi:[1,0,0] neg_lo:[0,0,1] neg_hi:[0,0,1]
	s_waitcnt vmcnt(1)
	v_mul_f32_e32 v10, v27, v5
	v_fmac_f32_e32 v10, v26, v4
	v_mul_f32_e32 v4, v27, v4
	v_fma_f32 v4, v26, v5, -v4
	v_mul_f32_e32 v26, v29, v35
	v_mul_f32_e32 v5, v29, v34
	v_fmac_f32_e32 v26, v28, v34
	v_fma_f32 v28, v28, v35, -v5
	s_waitcnt vmcnt(0)
	v_mul_f32_e32 v34, v31, v37
	v_mul_f32_e32 v5, v31, v36
	v_fmac_f32_e32 v34, v30, v36
	v_fma_f32 v30, v30, v37, -v5
	v_mul_lo_u32 v5, v9, s0
	v_mad_u64_u32 v[8:9], s[0:1], v8, s0, 0
	ds_read2_b32 v[36:37], v1 offset0:224 offset1:225
	s_mul_i32 s0, s7, s2
	s_mov_b32 s1, s9
	s_add_u32 s2, s14, s4
	s_addc_u32 s4, s15, s5
	s_lshl_b64 s[0:1], s[0:1], 3
	s_add_u32 s0, s2, s0
	v_add3_u32 v9, v9, v6, v5
	s_addc_u32 s1, s4, s1
	v_mul_lo_u32 v6, v0, s3
	v_lshl_add_u64 v[0:1], v[8:9], 3, s[0:1]
	v_mov_b32_e32 v8, v33
	v_mov_b32_e32 v9, v32
	s_waitcnt lgkmcnt(0)
	v_pk_mul_f32 v[32:33], v[32:33], v[36:37] op_sel_hi:[1,0]
	v_mov_b32_e32 v36, v37
	v_pk_fma_f32 v[46:47], v[36:37], v[8:9], v[32:33] op_sel_hi:[0,1,1]
	v_pk_fma_f32 v[36:37], v[36:37], v[8:9], v[32:33] op_sel_hi:[0,1,1] neg_lo:[0,0,1] neg_hi:[0,0,1]
	v_add_f32_e32 v8, v10, v2
	v_add_f32_e32 v9, v4, v3
	v_mov_b32_e32 v27, v28
	v_pk_add_f32 v[8:9], v[8:9], v[26:27]
	v_mov_b32_e32 v35, v30
	v_mov_b32_e32 v32, v46
	;; [unrolled: 1-line block ×3, first 2 shown]
	v_pk_add_f32 v[8:9], v[8:9], v[34:35]
	s_mov_b32 s7, s48
	v_pk_add_f32 v[8:9], v[8:9], v[32:33]
	v_mov_b32_e32 v32, v56
	v_mov_b32_e32 v33, v55
	v_pk_add_f32 v[8:9], v[8:9], v[32:33]
	v_mov_b32_e32 v32, v58
	v_mov_b32_e32 v33, v61
	;; [unrolled: 3-line block ×8, first 2 shown]
	v_pk_add_f32 v[32:33], v[8:9], v[32:33]
	v_pk_add_f32 v[8:9], v[10:11], v[22:23]
	v_pk_add_f32 v[10:11], v[10:11], v[22:23] neg_lo:[0,1] neg_hi:[0,1]
	v_lshl_add_u64 v[22:23], v[6:7], 3, v[0:1]
	v_mov_b32_e32 v9, v10
	v_pk_add_f32 v[10:11], v[4:5], v[24:25] op_sel:[0,1] neg_lo:[0,1] neg_hi:[0,1]
	v_pk_add_f32 v[4:5], v[4:5], v[24:25] op_sel_hi:[0,1]
	global_store_dwordx2 v[22:23], v[32:33], off
	v_pk_add_f32 v[22:23], v[26:27], v[12:13]
	v_pk_add_f32 v[12:13], v[26:27], v[12:13] neg_lo:[0,1] neg_hi:[0,1]
	v_mov_b32_e32 v4, v10
	v_pk_mul_f32 v[48:49], v[8:9], s[6:7]
	v_mov_b32_e32 v23, v12
	v_pk_add_f32 v[24:25], v[28:29], v[42:43] op_sel:[0,1] neg_lo:[0,1] neg_hi:[0,1]
	v_pk_add_f32 v[12:13], v[28:29], v[42:43] op_sel_hi:[0,1]
	v_pk_add_f32 v[26:27], v[34:35], v[14:15]
	v_pk_add_f32 v[14:15], v[34:35], v[14:15] neg_lo:[0,1] neg_hi:[0,1]
	v_pk_add_f32 v[28:29], v[46:47], v[16:17]
	v_pk_add_f32 v[16:17], v[46:47], v[16:17] neg_lo:[0,1] neg_hi:[0,1]
	v_pk_fma_f32 v[44:45], v[10:11], s[48:49], v[48:49] neg_lo:[1,0,0] neg_hi:[1,0,0]
	v_pk_fma_f32 v[50:51], v[4:5], s[48:49], v[48:49]
	v_mov_b32_e32 v12, v24
	v_pk_mul_f32 v[52:53], v[22:23], s[26:27]
	v_mov_b32_e32 v27, v14
	v_pk_add_f32 v[32:33], v[30:31], v[20:21] op_sel:[0,1] neg_lo:[0,1] neg_hi:[0,1]
	v_pk_add_f32 v[14:15], v[30:31], v[20:21] op_sel_hi:[0,1]
	v_mov_b32_e32 v29, v16
	v_pk_add_f32 v[34:35], v[36:37], v[18:19] neg_lo:[0,1] neg_hi:[0,1]
	v_pk_add_f32 v[16:17], v[36:37], v[18:19]
	v_pk_add_f32 v[30:31], v[56:57], v[38:39]
	v_pk_add_f32 v[18:19], v[56:57], v[38:39] neg_lo:[0,1] neg_hi:[0,1]
	v_pk_fma_f32 v[48:49], v[4:5], s[48:49], v[48:49] neg_lo:[0,0,1] neg_hi:[0,0,1]
	v_mov_b32_e32 v45, v51
	v_pk_fma_f32 v[42:43], v[24:25], s[24:25], v[52:53] neg_lo:[1,0,0] neg_hi:[1,0,0]
	v_pk_fma_f32 v[56:57], v[12:13], s[24:25], v[52:53]
	v_mov_b32_e32 v14, v32
	v_mov_b32_e32 v31, v18
	v_pk_add_f32 v[38:39], v[54:55], v[64:65] neg_lo:[0,1] neg_hi:[0,1]
	v_pk_add_f32 v[18:19], v[54:55], v[64:65]
	v_pk_mul_f32 v[54:55], v[26:27], s[36:37]
	v_mov_b32_e32 v51, v49
	v_pk_fma_f32 v[48:49], v[12:13], s[24:25], v[52:53] neg_lo:[0,0,1] neg_hi:[0,0,1]
	v_mov_b32_e32 v43, v57
	v_pk_add_f32 v[36:37], v[58:59], v[40:41]
	v_pk_add_f32 v[20:21], v[58:59], v[40:41] neg_lo:[0,1] neg_hi:[0,1]
	v_pk_fma_f32 v[46:47], v[32:33], s[34:35], v[54:55] neg_lo:[1,0,0] neg_hi:[1,0,0]
	v_pk_fma_f32 v[58:59], v[14:15], s[34:35], v[54:55]
	v_mov_b32_e32 v57, v49
	v_pk_add_f32 v[48:49], v[50:51], v[2:3]
	v_pk_fma_f32 v[54:55], v[14:15], s[34:35], v[54:55] neg_lo:[0,0,1] neg_hi:[0,0,1]
	v_mov_b32_e32 v47, v59
	v_mov_b32_e32 v16, v35
	s_mov_b32 s9, s10
	v_pk_mul_f32 v[52:53], v[28:29], s[10:11]
	v_pk_add_f32 v[50:51], v[56:57], v[48:49]
	v_mov_b32_e32 v59, v55
	v_pk_fma_f32 v[48:49], v[34:35], s[8:9], v[52:53] op_sel:[1,0,0] neg_lo:[1,0,0] neg_hi:[1,0,0]
	v_pk_fma_f32 v[54:55], v[16:17], s[8:9], v[52:53]
	v_pk_add_f32 v[56:57], v[58:59], v[50:51]
	v_pk_fma_f32 v[50:51], v[16:17], s[8:9], v[52:53] neg_lo:[0,0,1] neg_hi:[0,0,1]
	v_mov_b32_e32 v49, v55
	v_mov_b32_e32 v18, v39
	v_pk_mul_f32 v[58:59], v[30:31], s[16:17]
	v_mov_b32_e32 v55, v51
	v_mov_b32_e32 v37, v20
	v_pk_add_f32 v[40:41], v[60:61], v[62:63] neg_lo:[0,1] neg_hi:[0,1]
	v_pk_add_f32 v[20:21], v[60:61], v[62:63]
	v_pk_fma_f32 v[50:51], v[38:39], s[12:13], v[58:59] op_sel:[1,0,0] neg_lo:[1,0,0] neg_hi:[1,0,0]
	v_pk_add_f32 v[52:53], v[54:55], v[56:57]
	v_pk_fma_f32 v[54:55], v[18:19], s[12:13], v[58:59]
	v_pk_fma_f32 v[56:57], v[18:19], s[12:13], v[58:59] neg_lo:[0,0,1] neg_hi:[0,0,1]
	v_mov_b32_e32 v51, v55
	v_mov_b32_e32 v20, v41
	;; [unrolled: 1-line block ×3, first 2 shown]
	v_pk_mul_f32 v[56:57], v[36:37], s[28:29]
	v_pk_add_f32 v[54:55], v[54:55], v[52:53]
	v_pk_fma_f32 v[52:53], v[40:41], s[22:23], v[56:57] op_sel:[1,0,0] neg_lo:[1,0,0] neg_hi:[1,0,0]
	v_pk_fma_f32 v[58:59], v[20:21], s[22:23], v[56:57]
	v_pk_fma_f32 v[56:57], v[20:21], s[22:23], v[56:57] neg_lo:[0,0,1] neg_hi:[0,0,1]
	s_mul_i32 s4, s3, 13
	v_mov_b32_e32 v53, v59
	v_mov_b32_e32 v59, v57
	v_add_u32_e32 v6, s4, v6
	v_pk_add_f32 v[54:55], v[58:59], v[54:55]
	v_lshl_add_u64 v[56:57], v[6:7], 3, v[0:1]
	global_store_dwordx2 v[56:57], v[54:55], off
	v_pk_mul_f32 v[56:57], v[8:9], s[26:27]
	v_pk_mul_f32 v[60:61], v[22:23], s[10:11]
	v_pk_fma_f32 v[54:55], v[10:11], s[24:25], v[56:57] neg_lo:[1,0,0] neg_hi:[1,0,0]
	v_pk_fma_f32 v[58:59], v[4:5], s[24:25], v[56:57]
	v_pk_fma_f32 v[56:57], v[4:5], s[24:25], v[56:57] neg_lo:[0,0,1] neg_hi:[0,0,1]
	v_mov_b32_e32 v55, v59
	v_mov_b32_e32 v59, v57
	v_pk_fma_f32 v[56:57], v[24:25], s[8:9], v[60:61] neg_lo:[1,0,0] neg_hi:[1,0,0]
	v_pk_fma_f32 v[62:63], v[12:13], s[8:9], v[60:61]
	v_pk_fma_f32 v[60:61], v[12:13], s[8:9], v[60:61] neg_lo:[0,0,1] neg_hi:[0,0,1]
	v_mov_b32_e32 v57, v63
	v_mov_b32_e32 v63, v61
	v_pk_add_f32 v[58:59], v[58:59], v[2:3]
	s_mov_b32 s2, s16
	v_pk_add_f32 v[60:61], v[62:63], v[58:59]
	v_pk_mul_f32 v[62:63], v[26:27], s[28:29]
	s_mov_b32 s3, s42
	v_pk_fma_f32 v[58:59], v[32:33], s[22:23], v[62:63] neg_lo:[1,0,0] neg_hi:[1,0,0]
	v_pk_fma_f32 v[64:65], v[14:15], s[22:23], v[62:63]
	v_pk_fma_f32 v[62:63], v[14:15], s[22:23], v[62:63] neg_lo:[0,0,1] neg_hi:[0,0,1]
	v_mov_b32_e32 v59, v65
	v_mov_b32_e32 v65, v63
	v_pk_add_f32 v[62:63], v[64:65], v[60:61]
	v_pk_mul_f32 v[64:65], v[28:29], s[2:3]
	s_mov_b32 s0, s36
	v_pk_fma_f32 v[60:61], v[34:35], s[42:43], v[64:65] op_sel:[1,0,0] neg_lo:[1,0,0] neg_hi:[1,0,0]
	v_pk_fma_f32 v[66:67], v[16:17], s[42:43], v[64:65]
	v_pk_fma_f32 v[64:65], v[16:17], s[42:43], v[64:65] neg_lo:[0,0,1] neg_hi:[0,0,1]
	v_mov_b32_e32 v61, v67
	v_mov_b32_e32 v67, v65
	s_mov_b32 s1, s18
	v_pk_add_f32 v[64:65], v[66:67], v[62:63]
	v_pk_mul_f32 v[66:67], v[30:31], s[0:1]
	s_mov_b32 s7, s20
	v_pk_fma_f32 v[62:63], v[38:39], s[18:19], v[66:67] op_sel:[1,0,0] neg_lo:[1,0,0] neg_hi:[1,0,0]
	v_pk_fma_f32 v[68:69], v[18:19], s[18:19], v[66:67]
	v_pk_fma_f32 v[66:67], v[18:19], s[18:19], v[66:67] neg_lo:[0,0,1] neg_hi:[0,0,1]
	v_mov_b32_e32 v63, v69
	v_mov_b32_e32 v69, v67
	v_pk_add_f32 v[66:67], v[68:69], v[64:65]
	v_pk_mul_f32 v[68:69], v[36:37], s[6:7]
	v_add_u32_e32 v6, s4, v6
	v_pk_fma_f32 v[64:65], v[40:41], s[20:21], v[68:69] op_sel:[1,0,0] neg_lo:[1,0,0] neg_hi:[1,0,0]
	v_pk_fma_f32 v[70:71], v[20:21], s[20:21], v[68:69]
	v_pk_fma_f32 v[68:69], v[20:21], s[20:21], v[68:69] neg_lo:[0,0,1] neg_hi:[0,0,1]
	v_mov_b32_e32 v65, v71
	v_mov_b32_e32 v71, v69
	v_pk_add_f32 v[66:67], v[70:71], v[66:67]
	v_lshl_add_u64 v[68:69], v[6:7], 3, v[0:1]
	global_store_dwordx2 v[68:69], v[66:67], off
	v_pk_mul_f32 v[68:69], v[8:9], s[36:37]
	v_pk_mul_f32 v[72:73], v[22:23], s[28:29]
	v_pk_fma_f32 v[66:67], v[10:11], s[34:35], v[68:69] neg_lo:[1,0,0] neg_hi:[1,0,0]
	v_pk_fma_f32 v[70:71], v[4:5], s[34:35], v[68:69]
	v_pk_fma_f32 v[68:69], v[4:5], s[34:35], v[68:69] neg_lo:[0,0,1] neg_hi:[0,0,1]
	v_mov_b32_e32 v67, v71
	v_mov_b32_e32 v71, v69
	v_pk_fma_f32 v[68:69], v[24:25], s[22:23], v[72:73] neg_lo:[1,0,0] neg_hi:[1,0,0]
	v_pk_fma_f32 v[74:75], v[12:13], s[22:23], v[72:73]
	v_pk_fma_f32 v[72:73], v[12:13], s[22:23], v[72:73] neg_lo:[0,0,1] neg_hi:[0,0,1]
	v_mov_b32_e32 v69, v75
	v_mov_b32_e32 v75, v73
	v_pk_add_f32 v[70:71], v[70:71], v[2:3]
	s_mov_b32 s14, s10
	s_mov_b32 s15, s46
	v_pk_add_f32 v[72:73], v[74:75], v[70:71]
	v_pk_mul_f32 v[74:75], v[26:27], s[14:15]
	v_add_u32_e32 v6, s4, v6
	v_pk_fma_f32 v[70:71], v[32:33], s[46:47], v[74:75] neg_lo:[1,0,0] neg_hi:[1,0,0]
	v_pk_fma_f32 v[76:77], v[14:15], s[46:47], v[74:75]
	v_pk_fma_f32 v[74:75], v[14:15], s[46:47], v[74:75] neg_lo:[0,0,1] neg_hi:[0,0,1]
	v_mov_b32_e32 v71, v77
	v_mov_b32_e32 v77, v75
	v_pk_add_f32 v[74:75], v[76:77], v[72:73]
	v_pk_mul_f32 v[76:77], v[28:29], s[6:7]
	s_mov_b32 s14, s28
	v_pk_fma_f32 v[72:73], v[34:35], s[20:21], v[76:77] op_sel:[1,0,0] neg_lo:[1,0,0] neg_hi:[1,0,0]
	v_pk_fma_f32 v[78:79], v[16:17], s[20:21], v[76:77]
	v_pk_fma_f32 v[76:77], v[16:17], s[20:21], v[76:77] neg_lo:[0,0,1] neg_hi:[0,0,1]
	v_mov_b32_e32 v73, v79
	v_mov_b32_e32 v79, v77
	v_pk_add_f32 v[76:77], v[78:79], v[74:75]
	v_pk_mul_f32 v[78:79], v[30:31], s[26:27]
	s_mov_b32 s15, s38
	v_pk_fma_f32 v[74:75], v[38:39], s[24:25], v[78:79] op_sel:[1,0,0] neg_lo:[1,0,0] neg_hi:[1,0,0]
	v_pk_fma_f32 v[80:81], v[18:19], s[24:25], v[78:79]
	v_pk_fma_f32 v[78:79], v[18:19], s[24:25], v[78:79] neg_lo:[0,0,1] neg_hi:[0,0,1]
	v_mov_b32_e32 v75, v81
	v_mov_b32_e32 v81, v79
	v_pk_add_f32 v[78:79], v[80:81], v[76:77]
	v_pk_mul_f32 v[80:81], v[36:37], s[16:17]
	s_nop 0
	v_pk_fma_f32 v[76:77], v[40:41], s[12:13], v[80:81] op_sel:[1,0,0] neg_lo:[1,0,0] neg_hi:[1,0,0]
	v_pk_fma_f32 v[82:83], v[20:21], s[12:13], v[80:81]
	v_pk_fma_f32 v[80:81], v[20:21], s[12:13], v[80:81] neg_lo:[0,0,1] neg_hi:[0,0,1]
	v_mov_b32_e32 v77, v83
	v_mov_b32_e32 v83, v81
	v_pk_add_f32 v[78:79], v[82:83], v[78:79]
	v_lshl_add_u64 v[80:81], v[6:7], 3, v[0:1]
	global_store_dwordx2 v[80:81], v[78:79], off
	v_pk_mul_f32 v[78:79], v[8:9], s[10:11]
	v_add_u32_e32 v6, s4, v6
	v_pk_fma_f32 v[80:81], v[10:11], s[8:9], v[78:79] neg_lo:[1,0,0] neg_hi:[1,0,0]
	v_pk_fma_f32 v[82:83], v[4:5], s[8:9], v[78:79]
	v_pk_fma_f32 v[78:79], v[4:5], s[8:9], v[78:79] neg_lo:[0,0,1] neg_hi:[0,0,1]
	v_mov_b32_e32 v81, v83
	v_mov_b32_e32 v83, v79
	v_pk_mul_f32 v[78:79], v[22:23], s[2:3]
	s_mov_b32 s2, s26
	v_pk_fma_f32 v[84:85], v[24:25], s[42:43], v[78:79] neg_lo:[1,0,0] neg_hi:[1,0,0]
	v_pk_fma_f32 v[86:87], v[12:13], s[42:43], v[78:79]
	v_pk_fma_f32 v[78:79], v[12:13], s[42:43], v[78:79] neg_lo:[0,0,1] neg_hi:[0,0,1]
	v_mov_b32_e32 v85, v87
	v_mov_b32_e32 v87, v79
	v_pk_add_f32 v[78:79], v[82:83], v[2:3]
	v_pk_mul_f32 v[82:83], v[26:27], s[6:7]
	v_pk_add_f32 v[78:79], v[86:87], v[78:79]
	v_pk_fma_f32 v[86:87], v[32:33], s[20:21], v[82:83] neg_lo:[1,0,0] neg_hi:[1,0,0]
	v_pk_fma_f32 v[88:89], v[14:15], s[20:21], v[82:83]
	v_pk_fma_f32 v[82:83], v[14:15], s[20:21], v[82:83] neg_lo:[0,0,1] neg_hi:[0,0,1]
	v_mov_b32_e32 v87, v89
	v_mov_b32_e32 v89, v83
	v_pk_mul_f32 v[82:83], v[28:29], s[36:37]
	v_pk_add_f32 v[78:79], v[88:89], v[78:79]
	v_pk_fma_f32 v[88:89], v[34:35], s[34:35], v[82:83] op_sel:[1,0,0] neg_lo:[1,0,0] neg_hi:[1,0,0]
	v_pk_fma_f32 v[90:91], v[16:17], s[34:35], v[82:83]
	v_pk_fma_f32 v[82:83], v[16:17], s[34:35], v[82:83] neg_lo:[0,0,1] neg_hi:[0,0,1]
	v_mov_b32_e32 v89, v91
	v_mov_b32_e32 v91, v83
	v_pk_mul_f32 v[82:83], v[30:31], s[14:15]
	v_pk_add_f32 v[78:79], v[90:91], v[78:79]
	v_pk_fma_f32 v[90:91], v[38:39], s[38:39], v[82:83] op_sel:[1,0,0] neg_lo:[1,0,0] neg_hi:[1,0,0]
	v_pk_fma_f32 v[92:93], v[18:19], s[38:39], v[82:83]
	v_pk_fma_f32 v[82:83], v[18:19], s[38:39], v[82:83] neg_lo:[0,0,1] neg_hi:[0,0,1]
	s_mov_b32 s3, s30
	v_mov_b32_e32 v91, v93
	v_mov_b32_e32 v93, v83
	v_pk_mul_f32 v[82:83], v[36:37], s[2:3]
	v_pk_add_f32 v[78:79], v[92:93], v[78:79]
	v_pk_fma_f32 v[92:93], v[40:41], s[30:31], v[82:83] op_sel:[1,0,0] neg_lo:[1,0,0] neg_hi:[1,0,0]
	v_pk_fma_f32 v[94:95], v[20:21], s[30:31], v[82:83]
	v_pk_fma_f32 v[82:83], v[20:21], s[30:31], v[82:83] neg_lo:[0,0,1] neg_hi:[0,0,1]
	v_mov_b32_e32 v93, v95
	v_mov_b32_e32 v95, v83
	v_pk_add_f32 v[78:79], v[94:95], v[78:79]
	v_lshl_add_u64 v[82:83], v[6:7], 3, v[0:1]
	global_store_dwordx2 v[82:83], v[78:79], off
	v_pk_mul_f32 v[78:79], v[8:9], s[16:17]
	v_add_u32_e32 v6, s4, v6
	v_pk_fma_f32 v[82:83], v[10:11], s[12:13], v[78:79] neg_lo:[1,0,0] neg_hi:[1,0,0]
	v_pk_fma_f32 v[94:95], v[4:5], s[12:13], v[78:79]
	v_pk_fma_f32 v[78:79], v[4:5], s[12:13], v[78:79] neg_lo:[0,0,1] neg_hi:[0,0,1]
	v_mov_b32_e32 v83, v95
	v_mov_b32_e32 v95, v79
	v_pk_mul_f32 v[78:79], v[22:23], s[0:1]
	v_pk_mul_f32 v[8:9], v[8:9], s[28:29]
	v_pk_fma_f32 v[96:97], v[24:25], s[18:19], v[78:79] neg_lo:[1,0,0] neg_hi:[1,0,0]
	v_pk_fma_f32 v[98:99], v[12:13], s[18:19], v[78:79]
	v_pk_fma_f32 v[78:79], v[12:13], s[18:19], v[78:79] neg_lo:[0,0,1] neg_hi:[0,0,1]
	v_mov_b32_e32 v97, v99
	v_mov_b32_e32 v99, v79
	v_pk_add_f32 v[78:79], v[94:95], v[2:3]
	v_pk_mul_f32 v[94:95], v[26:27], s[26:27]
	v_pk_add_f32 v[78:79], v[98:99], v[78:79]
	v_pk_fma_f32 v[98:99], v[32:33], s[24:25], v[94:95] neg_lo:[1,0,0] neg_hi:[1,0,0]
	v_pk_fma_f32 v[100:101], v[14:15], s[24:25], v[94:95]
	v_pk_fma_f32 v[94:95], v[14:15], s[24:25], v[94:95] neg_lo:[0,0,1] neg_hi:[0,0,1]
	v_mov_b32_e32 v99, v101
	v_mov_b32_e32 v101, v95
	v_pk_mul_f32 v[94:95], v[28:29], s[14:15]
	v_pk_add_f32 v[78:79], v[100:101], v[78:79]
	v_pk_fma_f32 v[100:101], v[34:35], s[38:39], v[94:95] op_sel:[1,0,0] neg_lo:[1,0,0] neg_hi:[1,0,0]
	v_pk_fma_f32 v[102:103], v[16:17], s[38:39], v[94:95]
	v_pk_fma_f32 v[94:95], v[16:17], s[38:39], v[94:95] neg_lo:[0,0,1] neg_hi:[0,0,1]
	v_mov_b32_e32 v101, v103
	v_mov_b32_e32 v103, v95
	v_pk_mul_f32 v[94:95], v[30:31], s[6:7]
	v_pk_add_f32 v[78:79], v[102:103], v[78:79]
	v_pk_fma_f32 v[102:103], v[38:39], s[20:21], v[94:95] op_sel:[1,0,0] neg_lo:[1,0,0] neg_hi:[1,0,0]
	;; [unrolled: 7-line block ×3, first 2 shown]
	v_pk_fma_f32 v[106:107], v[20:21], s[8:9], v[94:95]
	v_pk_fma_f32 v[94:95], v[20:21], s[8:9], v[94:95] neg_lo:[0,0,1] neg_hi:[0,0,1]
	v_mov_b32_e32 v105, v107
	v_mov_b32_e32 v107, v95
	v_pk_add_f32 v[78:79], v[106:107], v[78:79]
	v_lshl_add_u64 v[94:95], v[6:7], 3, v[0:1]
	global_store_dwordx2 v[94:95], v[78:79], off
	v_pk_fma_f32 v[10:11], v[10:11], s[22:23], v[8:9] neg_lo:[1,0,0] neg_hi:[1,0,0]
	v_pk_fma_f32 v[78:79], v[4:5], s[22:23], v[8:9]
	v_pk_fma_f32 v[4:5], v[4:5], s[22:23], v[8:9] neg_lo:[0,0,1] neg_hi:[0,0,1]
	v_mov_b32_e32 v11, v79
	v_mov_b32_e32 v79, v5
	v_pk_add_f32 v[4:5], v[44:45], v[2:3]
	v_pk_mul_f32 v[22:23], v[22:23], s[6:7]
	v_pk_add_f32 v[4:5], v[42:43], v[4:5]
	v_pk_fma_f32 v[24:25], v[24:25], s[20:21], v[22:23] neg_lo:[1,0,0] neg_hi:[1,0,0]
	v_pk_add_f32 v[4:5], v[46:47], v[4:5]
	v_pk_fma_f32 v[46:47], v[12:13], s[20:21], v[22:23]
	v_pk_add_f32 v[10:11], v[10:11], v[2:3]
	v_mov_b32_e32 v25, v47
	v_pk_add_f32 v[10:11], v[24:25], v[10:11]
	v_pk_mul_f32 v[24:25], v[26:27], s[16:17]
	v_add_u32_e32 v6, s4, v6
	v_pk_fma_f32 v[26:27], v[32:33], s[12:13], v[24:25] neg_lo:[1,0,0] neg_hi:[1,0,0]
	v_pk_fma_f32 v[32:33], v[14:15], s[12:13], v[24:25]
	v_pk_add_f32 v[8:9], v[54:55], v[2:3]
	v_mov_b32_e32 v27, v33
	v_pk_add_f32 v[44:45], v[66:67], v[2:3]
	v_pk_add_f32 v[54:55], v[80:81], v[2:3]
	;; [unrolled: 1-line block ×4, first 2 shown]
	v_lshl_add_u64 v[78:79], v[6:7], 3, v[0:1]
	v_add_u32_e32 v6, s4, v6
	v_pk_add_f32 v[10:11], v[26:27], v[10:11]
	v_pk_mul_f32 v[26:27], v[28:29], s[2:3]
	v_lshl_add_u64 v[80:81], v[6:7], 3, v[0:1]
	v_add_u32_e32 v6, s4, v6
	v_pk_fma_f32 v[28:29], v[34:35], s[30:31], v[26:27] op_sel:[1,0,0] neg_lo:[1,0,0] neg_hi:[1,0,0]
	v_pk_fma_f32 v[34:35], v[16:17], s[30:31], v[26:27]
	v_lshl_add_u64 v[82:83], v[6:7], 3, v[0:1]
	v_add_u32_e32 v6, s4, v6
	v_mov_b32_e32 v29, v35
	v_lshl_add_u64 v[94:95], v[6:7], 3, v[0:1]
	v_add_u32_e32 v6, s4, v6
	v_pk_add_f32 v[10:11], v[28:29], v[10:11]
	v_pk_mul_f32 v[28:29], v[30:31], s[10:11]
	v_pk_fma_f32 v[12:13], v[12:13], s[20:21], v[22:23] neg_lo:[0,0,1] neg_hi:[0,0,1]
	v_lshl_add_u64 v[106:107], v[6:7], 3, v[0:1]
	v_add_u32_e32 v6, s4, v6
	v_pk_fma_f32 v[30:31], v[38:39], s[8:9], v[28:29] op_sel:[1,0,0] neg_lo:[1,0,0] neg_hi:[1,0,0]
	v_pk_fma_f32 v[38:39], v[18:19], s[8:9], v[28:29]
	v_mov_b32_e32 v47, v13
	v_pk_fma_f32 v[12:13], v[14:15], s[12:13], v[24:25] neg_lo:[0,0,1] neg_hi:[0,0,1]
	v_lshl_add_u64 v[108:109], v[6:7], 3, v[0:1]
	v_add_u32_e32 v6, s4, v6
	v_mov_b32_e32 v31, v39
	v_pk_add_f32 v[2:3], v[46:47], v[2:3]
	v_mov_b32_e32 v33, v13
	v_pk_fma_f32 v[12:13], v[16:17], s[30:31], v[26:27] neg_lo:[0,0,1] neg_hi:[0,0,1]
	v_lshl_add_u64 v[0:1], v[6:7], 3, v[0:1]
	v_pk_add_f32 v[6:7], v[56:57], v[8:9]
	v_pk_add_f32 v[8:9], v[68:69], v[44:45]
	;; [unrolled: 1-line block ×5, first 2 shown]
	v_pk_mul_f32 v[30:31], v[36:37], s[0:1]
	v_pk_add_f32 v[2:3], v[32:33], v[2:3]
	v_mov_b32_e32 v35, v13
	v_pk_fma_f32 v[12:13], v[18:19], s[8:9], v[28:29] neg_lo:[0,0,1] neg_hi:[0,0,1]
	v_pk_add_f32 v[6:7], v[58:59], v[6:7]
	v_pk_add_f32 v[8:9], v[70:71], v[8:9]
	;; [unrolled: 1-line block ×4, first 2 shown]
	v_pk_fma_f32 v[36:37], v[40:41], s[18:19], v[30:31] op_sel:[1,0,0] neg_lo:[1,0,0] neg_hi:[1,0,0]
	v_pk_fma_f32 v[40:41], v[20:21], s[18:19], v[30:31]
	v_pk_add_f32 v[2:3], v[34:35], v[2:3]
	v_mov_b32_e32 v39, v13
	v_pk_fma_f32 v[12:13], v[20:21], s[18:19], v[30:31] neg_lo:[0,0,1] neg_hi:[0,0,1]
	v_pk_add_f32 v[4:5], v[48:49], v[4:5]
	v_pk_add_f32 v[6:7], v[60:61], v[6:7]
	;; [unrolled: 1-line block ×5, first 2 shown]
	v_mov_b32_e32 v37, v41
	v_pk_add_f32 v[2:3], v[38:39], v[2:3]
	v_mov_b32_e32 v41, v13
	v_pk_add_f32 v[4:5], v[50:51], v[4:5]
	v_pk_add_f32 v[6:7], v[62:63], v[6:7]
	;; [unrolled: 1-line block ×12, first 2 shown]
	global_store_dwordx2 v[78:79], v[2:3], off
	global_store_dwordx2 v[80:81], v[10:11], off
	;; [unrolled: 1-line block ×7, first 2 shown]
	s_endpgm
	.section	.rodata,"a",@progbits
	.p2align	6, 0x0
	.amdhsa_kernel fft_rtc_back_len169_factors_13_13_wgs_156_tpt_13_sp_op_CI_CI_sbrc_z_xy_diag_dirReg
		.amdhsa_group_segment_fixed_size 0
		.amdhsa_private_segment_fixed_size 0
		.amdhsa_kernarg_size 104
		.amdhsa_user_sgpr_count 2
		.amdhsa_user_sgpr_dispatch_ptr 0
		.amdhsa_user_sgpr_queue_ptr 0
		.amdhsa_user_sgpr_kernarg_segment_ptr 1
		.amdhsa_user_sgpr_dispatch_id 0
		.amdhsa_user_sgpr_kernarg_preload_length 0
		.amdhsa_user_sgpr_kernarg_preload_offset 0
		.amdhsa_user_sgpr_private_segment_size 0
		.amdhsa_uses_dynamic_stack 0
		.amdhsa_enable_private_segment 0
		.amdhsa_system_sgpr_workgroup_id_x 1
		.amdhsa_system_sgpr_workgroup_id_y 0
		.amdhsa_system_sgpr_workgroup_id_z 0
		.amdhsa_system_sgpr_workgroup_info 0
		.amdhsa_system_vgpr_workitem_id 0
		.amdhsa_next_free_vgpr 159
		.amdhsa_next_free_sgpr 50
		.amdhsa_accum_offset 160
		.amdhsa_reserve_vcc 0
		.amdhsa_float_round_mode_32 0
		.amdhsa_float_round_mode_16_64 0
		.amdhsa_float_denorm_mode_32 3
		.amdhsa_float_denorm_mode_16_64 3
		.amdhsa_dx10_clamp 1
		.amdhsa_ieee_mode 1
		.amdhsa_fp16_overflow 0
		.amdhsa_tg_split 0
		.amdhsa_exception_fp_ieee_invalid_op 0
		.amdhsa_exception_fp_denorm_src 0
		.amdhsa_exception_fp_ieee_div_zero 0
		.amdhsa_exception_fp_ieee_overflow 0
		.amdhsa_exception_fp_ieee_underflow 0
		.amdhsa_exception_fp_ieee_inexact 0
		.amdhsa_exception_int_div_zero 0
	.end_amdhsa_kernel
	.text
.Lfunc_end0:
	.size	fft_rtc_back_len169_factors_13_13_wgs_156_tpt_13_sp_op_CI_CI_sbrc_z_xy_diag_dirReg, .Lfunc_end0-fft_rtc_back_len169_factors_13_13_wgs_156_tpt_13_sp_op_CI_CI_sbrc_z_xy_diag_dirReg
                                        ; -- End function
	.section	.AMDGPU.csdata,"",@progbits
; Kernel info:
; codeLenInByte = 7968
; NumSgprs: 56
; NumVgprs: 159
; NumAgprs: 0
; TotalNumVgprs: 159
; ScratchSize: 0
; MemoryBound: 0
; FloatMode: 240
; IeeeMode: 1
; LDSByteSize: 0 bytes/workgroup (compile time only)
; SGPRBlocks: 6
; VGPRBlocks: 19
; NumSGPRsForWavesPerEU: 56
; NumVGPRsForWavesPerEU: 159
; AccumOffset: 160
; Occupancy: 3
; WaveLimiterHint : 1
; COMPUTE_PGM_RSRC2:SCRATCH_EN: 0
; COMPUTE_PGM_RSRC2:USER_SGPR: 2
; COMPUTE_PGM_RSRC2:TRAP_HANDLER: 0
; COMPUTE_PGM_RSRC2:TGID_X_EN: 1
; COMPUTE_PGM_RSRC2:TGID_Y_EN: 0
; COMPUTE_PGM_RSRC2:TGID_Z_EN: 0
; COMPUTE_PGM_RSRC2:TIDIG_COMP_CNT: 0
; COMPUTE_PGM_RSRC3_GFX90A:ACCUM_OFFSET: 39
; COMPUTE_PGM_RSRC3_GFX90A:TG_SPLIT: 0
	.text
	.p2alignl 6, 3212836864
	.fill 256, 4, 3212836864
	.type	__hip_cuid_fe66d47fe652be2a,@object ; @__hip_cuid_fe66d47fe652be2a
	.section	.bss,"aw",@nobits
	.globl	__hip_cuid_fe66d47fe652be2a
__hip_cuid_fe66d47fe652be2a:
	.byte	0                               ; 0x0
	.size	__hip_cuid_fe66d47fe652be2a, 1

	.ident	"AMD clang version 19.0.0git (https://github.com/RadeonOpenCompute/llvm-project roc-6.4.0 25133 c7fe45cf4b819c5991fe208aaa96edf142730f1d)"
	.section	".note.GNU-stack","",@progbits
	.addrsig
	.addrsig_sym __hip_cuid_fe66d47fe652be2a
	.amdgpu_metadata
---
amdhsa.kernels:
  - .agpr_count:     0
    .args:
      - .actual_access:  read_only
        .address_space:  global
        .offset:         0
        .size:           8
        .value_kind:     global_buffer
      - .offset:         8
        .size:           8
        .value_kind:     by_value
      - .actual_access:  read_only
        .address_space:  global
        .offset:         16
        .size:           8
        .value_kind:     global_buffer
      - .actual_access:  read_only
        .address_space:  global
        .offset:         24
        .size:           8
        .value_kind:     global_buffer
      - .actual_access:  read_only
        .address_space:  global
        .offset:         32
        .size:           8
        .value_kind:     global_buffer
      - .offset:         40
        .size:           8
        .value_kind:     by_value
      - .actual_access:  read_only
        .address_space:  global
        .offset:         48
        .size:           8
        .value_kind:     global_buffer
      - .actual_access:  read_only
        .address_space:  global
        .offset:         56
        .size:           8
        .value_kind:     global_buffer
      - .offset:         64
        .size:           4
        .value_kind:     by_value
      - .actual_access:  read_only
        .address_space:  global
        .offset:         72
        .size:           8
        .value_kind:     global_buffer
      - .actual_access:  read_only
        .address_space:  global
        .offset:         80
        .size:           8
        .value_kind:     global_buffer
      - .actual_access:  read_only
        .address_space:  global
        .offset:         88
        .size:           8
        .value_kind:     global_buffer
      - .actual_access:  write_only
        .address_space:  global
        .offset:         96
        .size:           8
        .value_kind:     global_buffer
    .group_segment_fixed_size: 0
    .kernarg_segment_align: 8
    .kernarg_segment_size: 104
    .language:       OpenCL C
    .language_version:
      - 2
      - 0
    .max_flat_workgroup_size: 156
    .name:           fft_rtc_back_len169_factors_13_13_wgs_156_tpt_13_sp_op_CI_CI_sbrc_z_xy_diag_dirReg
    .private_segment_fixed_size: 0
    .sgpr_count:     56
    .sgpr_spill_count: 0
    .symbol:         fft_rtc_back_len169_factors_13_13_wgs_156_tpt_13_sp_op_CI_CI_sbrc_z_xy_diag_dirReg.kd
    .uniform_work_group_size: 1
    .uses_dynamic_stack: false
    .vgpr_count:     159
    .vgpr_spill_count: 0
    .wavefront_size: 64
amdhsa.target:   amdgcn-amd-amdhsa--gfx950
amdhsa.version:
  - 1
  - 2
...

	.end_amdgpu_metadata
